;; amdgpu-corpus repo=llvm/llvm-project kind=harvested arch=n/a opt=n/a
// NOTE: Assertions have been autogenerated by utils/update_mc_test_checks.py UTC_ARGS: --version 6
// RUN: llvm-mc -triple=amdgcn -mcpu=gfx1310 -show-encoding %s | FileCheck -check-prefixes=GFX13 %s
// RUN: llvm-mc -triple=amdgcn -mcpu=gfx1310 -show-encoding %s | %extract-encodings | llvm-mc -triple=amdgcn -mcpu=gfx1310 -disassemble -show-encoding | FileCheck -check-prefixes=GFX13 %s

s_waitcnt_depctr 0
// GFX13: s_wait_alu depctr_hold_cnt(0) depctr_sa_sdst(0) depctr_va_vdst(0) depctr_va_sdst(0) depctr_va_ssrc(0) depctr_va_vcc(0) depctr_vm_vsrc(0) ; encoding: [0x00,0x00,0xa3,0xbf]

s_waitcnt_depctr 0x1234
// GFX13: s_wait_alu 0x1234                       ; encoding: [0x34,0x12,0xa3,0xbf]

s_waitcnt_depctr depctr_va_vdst(14)
// GFX13: s_wait_alu depctr_va_vdst(14)           ; encoding: [0x9f,0xef,0xa3,0xbf]

s_waitcnt_depctr depctr_va_sdst(6)
// GFX13: s_wait_alu depctr_va_sdst(6)            ; encoding: [0x9f,0xfd,0xa3,0xbf]

s_waitcnt_depctr depctr_vm_vsrc(6)
// GFX13: s_wait_alu depctr_vm_vsrc(6)            ; encoding: [0x9b,0xff,0xa3,0xbf]
